;; amdgpu-corpus repo=ROCm/rocFFT kind=compiled arch=gfx1201 opt=O3
	.text
	.amdgcn_target "amdgcn-amd-amdhsa--gfx1201"
	.amdhsa_code_object_version 6
	.protected	fft_rtc_back_len936_factors_2_2_13_2_3_3_wgs_234_tpt_78_halfLds_dp_op_CI_CI_unitstride_sbrr_dirReg ; -- Begin function fft_rtc_back_len936_factors_2_2_13_2_3_3_wgs_234_tpt_78_halfLds_dp_op_CI_CI_unitstride_sbrr_dirReg
	.globl	fft_rtc_back_len936_factors_2_2_13_2_3_3_wgs_234_tpt_78_halfLds_dp_op_CI_CI_unitstride_sbrr_dirReg
	.p2align	8
	.type	fft_rtc_back_len936_factors_2_2_13_2_3_3_wgs_234_tpt_78_halfLds_dp_op_CI_CI_unitstride_sbrr_dirReg,@function
fft_rtc_back_len936_factors_2_2_13_2_3_3_wgs_234_tpt_78_halfLds_dp_op_CI_CI_unitstride_sbrr_dirReg: ; @fft_rtc_back_len936_factors_2_2_13_2_3_3_wgs_234_tpt_78_halfLds_dp_op_CI_CI_unitstride_sbrr_dirReg
; %bb.0:
	s_load_b128 s[8:11], s[0:1], 0x0
	v_mul_u32_u24_e32 v1, 0x349, v0
	s_clause 0x1
	s_load_b128 s[4:7], s[0:1], 0x58
	s_load_b128 s[12:15], s[0:1], 0x18
	v_mov_b32_e32 v4, 0
	v_lshrrev_b32_e32 v2, 16, v1
	v_mov_b32_e32 v1, 0
	s_delay_alu instid0(VALU_DEP_2) | instskip(NEXT) | instid1(VALU_DEP_2)
	v_mad_co_u64_u32 v[48:49], null, ttmp9, 3, v[2:3]
	v_mov_b32_e32 v49, v1
	v_mov_b32_e32 v5, 0
	s_delay_alu instid0(VALU_DEP_2) | instskip(SKIP_2) | instid1(VALU_DEP_3)
	v_dual_mov_b32 v65, v49 :: v_dual_mov_b32 v64, v48
	s_wait_kmcnt 0x0
	v_cmp_lt_u64_e64 s2, s[10:11], 2
	v_dual_mov_b32 v63, v5 :: v_dual_mov_b32 v62, v4
	s_delay_alu instid0(VALU_DEP_2)
	s_and_b32 vcc_lo, exec_lo, s2
	s_cbranch_vccnz .LBB0_8
; %bb.1:
	s_load_b64 s[2:3], s[0:1], 0x10
	v_mov_b32_e32 v4, 0
	v_dual_mov_b32 v5, 0 :: v_dual_mov_b32 v6, v48
	v_mov_b32_e32 v7, v49
	s_add_nc_u64 s[16:17], s[14:15], 8
	s_add_nc_u64 s[18:19], s[12:13], 8
	s_delay_alu instid0(VALU_DEP_2)
	v_dual_mov_b32 v63, v5 :: v_dual_mov_b32 v62, v4
	s_mov_b64 s[20:21], 1
	s_wait_kmcnt 0x0
	s_add_nc_u64 s[22:23], s[2:3], 8
	s_mov_b32 s3, 0
.LBB0_2:                                ; =>This Inner Loop Header: Depth=1
	s_load_b64 s[24:25], s[22:23], 0x0
                                        ; implicit-def: $vgpr64_vgpr65
	s_mov_b32 s2, exec_lo
	s_wait_kmcnt 0x0
	v_or_b32_e32 v2, s25, v7
	s_delay_alu instid0(VALU_DEP_1)
	v_cmpx_ne_u64_e32 0, v[1:2]
	s_wait_alu 0xfffe
	s_xor_b32 s26, exec_lo, s2
	s_cbranch_execz .LBB0_4
; %bb.3:                                ;   in Loop: Header=BB0_2 Depth=1
	s_cvt_f32_u32 s2, s24
	s_cvt_f32_u32 s27, s25
	s_sub_nc_u64 s[30:31], 0, s[24:25]
	s_wait_alu 0xfffe
	s_delay_alu instid0(SALU_CYCLE_1) | instskip(SKIP_1) | instid1(SALU_CYCLE_2)
	s_fmamk_f32 s2, s27, 0x4f800000, s2
	s_wait_alu 0xfffe
	v_s_rcp_f32 s2, s2
	s_delay_alu instid0(TRANS32_DEP_1) | instskip(SKIP_1) | instid1(SALU_CYCLE_2)
	s_mul_f32 s2, s2, 0x5f7ffffc
	s_wait_alu 0xfffe
	s_mul_f32 s27, s2, 0x2f800000
	s_wait_alu 0xfffe
	s_delay_alu instid0(SALU_CYCLE_2) | instskip(SKIP_1) | instid1(SALU_CYCLE_2)
	s_trunc_f32 s27, s27
	s_wait_alu 0xfffe
	s_fmamk_f32 s2, s27, 0xcf800000, s2
	s_cvt_u32_f32 s29, s27
	s_wait_alu 0xfffe
	s_delay_alu instid0(SALU_CYCLE_1) | instskip(SKIP_1) | instid1(SALU_CYCLE_2)
	s_cvt_u32_f32 s28, s2
	s_wait_alu 0xfffe
	s_mul_u64 s[34:35], s[30:31], s[28:29]
	s_wait_alu 0xfffe
	s_mul_hi_u32 s37, s28, s35
	s_mul_i32 s36, s28, s35
	s_mul_hi_u32 s2, s28, s34
	s_mul_i32 s33, s29, s34
	s_wait_alu 0xfffe
	s_add_nc_u64 s[36:37], s[2:3], s[36:37]
	s_mul_hi_u32 s27, s29, s34
	s_mul_hi_u32 s38, s29, s35
	s_add_co_u32 s2, s36, s33
	s_wait_alu 0xfffe
	s_add_co_ci_u32 s2, s37, s27
	s_mul_i32 s34, s29, s35
	s_add_co_ci_u32 s35, s38, 0
	s_wait_alu 0xfffe
	s_add_nc_u64 s[34:35], s[2:3], s[34:35]
	s_wait_alu 0xfffe
	v_add_co_u32 v2, s2, s28, s34
	s_delay_alu instid0(VALU_DEP_1) | instskip(SKIP_1) | instid1(VALU_DEP_1)
	s_cmp_lg_u32 s2, 0
	s_add_co_ci_u32 s29, s29, s35
	v_readfirstlane_b32 s28, v2
	s_wait_alu 0xfffe
	s_delay_alu instid0(VALU_DEP_1)
	s_mul_u64 s[30:31], s[30:31], s[28:29]
	s_wait_alu 0xfffe
	s_mul_hi_u32 s35, s28, s31
	s_mul_i32 s34, s28, s31
	s_mul_hi_u32 s2, s28, s30
	s_mul_i32 s33, s29, s30
	s_wait_alu 0xfffe
	s_add_nc_u64 s[34:35], s[2:3], s[34:35]
	s_mul_hi_u32 s27, s29, s30
	s_mul_hi_u32 s28, s29, s31
	s_wait_alu 0xfffe
	s_add_co_u32 s2, s34, s33
	s_add_co_ci_u32 s2, s35, s27
	s_mul_i32 s30, s29, s31
	s_add_co_ci_u32 s31, s28, 0
	s_wait_alu 0xfffe
	s_add_nc_u64 s[30:31], s[2:3], s[30:31]
	s_wait_alu 0xfffe
	v_add_co_u32 v8, s2, v2, s30
	s_delay_alu instid0(VALU_DEP_1) | instskip(SKIP_1) | instid1(VALU_DEP_1)
	s_cmp_lg_u32 s2, 0
	s_add_co_ci_u32 s2, s29, s31
	v_mul_hi_u32 v12, v6, v8
	s_wait_alu 0xfffe
	v_mad_co_u64_u32 v[2:3], null, v6, s2, 0
	v_mad_co_u64_u32 v[8:9], null, v7, v8, 0
	;; [unrolled: 1-line block ×3, first 2 shown]
	s_delay_alu instid0(VALU_DEP_3) | instskip(SKIP_1) | instid1(VALU_DEP_4)
	v_add_co_u32 v2, vcc_lo, v12, v2
	s_wait_alu 0xfffd
	v_add_co_ci_u32_e32 v3, vcc_lo, 0, v3, vcc_lo
	s_delay_alu instid0(VALU_DEP_2) | instskip(SKIP_1) | instid1(VALU_DEP_2)
	v_add_co_u32 v2, vcc_lo, v2, v8
	s_wait_alu 0xfffd
	v_add_co_ci_u32_e32 v2, vcc_lo, v3, v9, vcc_lo
	s_wait_alu 0xfffd
	v_add_co_ci_u32_e32 v3, vcc_lo, 0, v11, vcc_lo
	s_delay_alu instid0(VALU_DEP_2) | instskip(SKIP_1) | instid1(VALU_DEP_2)
	v_add_co_u32 v8, vcc_lo, v2, v10
	s_wait_alu 0xfffd
	v_add_co_ci_u32_e32 v9, vcc_lo, 0, v3, vcc_lo
	s_delay_alu instid0(VALU_DEP_2) | instskip(SKIP_1) | instid1(VALU_DEP_3)
	v_mul_lo_u32 v10, s25, v8
	v_mad_co_u64_u32 v[2:3], null, s24, v8, 0
	v_mul_lo_u32 v11, s24, v9
	s_delay_alu instid0(VALU_DEP_2) | instskip(NEXT) | instid1(VALU_DEP_2)
	v_sub_co_u32 v2, vcc_lo, v6, v2
	v_add3_u32 v3, v3, v11, v10
	s_delay_alu instid0(VALU_DEP_1) | instskip(SKIP_1) | instid1(VALU_DEP_1)
	v_sub_nc_u32_e32 v10, v7, v3
	s_wait_alu 0xfffd
	v_subrev_co_ci_u32_e64 v10, s2, s25, v10, vcc_lo
	v_add_co_u32 v11, s2, v8, 2
	s_wait_alu 0xf1ff
	v_add_co_ci_u32_e64 v12, s2, 0, v9, s2
	v_sub_co_u32 v13, s2, v2, s24
	v_sub_co_ci_u32_e32 v3, vcc_lo, v7, v3, vcc_lo
	s_wait_alu 0xf1ff
	v_subrev_co_ci_u32_e64 v10, s2, 0, v10, s2
	s_delay_alu instid0(VALU_DEP_3) | instskip(NEXT) | instid1(VALU_DEP_3)
	v_cmp_le_u32_e32 vcc_lo, s24, v13
	v_cmp_eq_u32_e64 s2, s25, v3
	s_wait_alu 0xfffd
	v_cndmask_b32_e64 v13, 0, -1, vcc_lo
	v_cmp_le_u32_e32 vcc_lo, s25, v10
	s_wait_alu 0xfffd
	v_cndmask_b32_e64 v14, 0, -1, vcc_lo
	v_cmp_le_u32_e32 vcc_lo, s24, v2
	;; [unrolled: 3-line block ×3, first 2 shown]
	s_wait_alu 0xfffd
	v_cndmask_b32_e64 v15, 0, -1, vcc_lo
	v_cmp_eq_u32_e32 vcc_lo, s25, v10
	s_wait_alu 0xf1ff
	s_delay_alu instid0(VALU_DEP_2)
	v_cndmask_b32_e64 v2, v15, v2, s2
	s_wait_alu 0xfffd
	v_cndmask_b32_e32 v10, v14, v13, vcc_lo
	v_add_co_u32 v13, vcc_lo, v8, 1
	s_wait_alu 0xfffd
	v_add_co_ci_u32_e32 v14, vcc_lo, 0, v9, vcc_lo
	s_delay_alu instid0(VALU_DEP_3) | instskip(SKIP_1) | instid1(VALU_DEP_2)
	v_cmp_ne_u32_e32 vcc_lo, 0, v10
	s_wait_alu 0xfffd
	v_dual_cndmask_b32 v3, v14, v12 :: v_dual_cndmask_b32 v10, v13, v11
	v_cmp_ne_u32_e32 vcc_lo, 0, v2
	s_wait_alu 0xfffd
	s_delay_alu instid0(VALU_DEP_2)
	v_dual_cndmask_b32 v65, v9, v3 :: v_dual_cndmask_b32 v64, v8, v10
.LBB0_4:                                ;   in Loop: Header=BB0_2 Depth=1
	s_wait_alu 0xfffe
	s_and_not1_saveexec_b32 s2, s26
	s_cbranch_execz .LBB0_6
; %bb.5:                                ;   in Loop: Header=BB0_2 Depth=1
	v_cvt_f32_u32_e32 v2, s24
	s_sub_co_i32 s26, 0, s24
	v_mov_b32_e32 v65, v1
	s_delay_alu instid0(VALU_DEP_2) | instskip(NEXT) | instid1(TRANS32_DEP_1)
	v_rcp_iflag_f32_e32 v2, v2
	v_mul_f32_e32 v2, 0x4f7ffffe, v2
	s_delay_alu instid0(VALU_DEP_1) | instskip(SKIP_1) | instid1(VALU_DEP_1)
	v_cvt_u32_f32_e32 v2, v2
	s_wait_alu 0xfffe
	v_mul_lo_u32 v3, s26, v2
	s_delay_alu instid0(VALU_DEP_1) | instskip(NEXT) | instid1(VALU_DEP_1)
	v_mul_hi_u32 v3, v2, v3
	v_add_nc_u32_e32 v2, v2, v3
	s_delay_alu instid0(VALU_DEP_1) | instskip(NEXT) | instid1(VALU_DEP_1)
	v_mul_hi_u32 v2, v6, v2
	v_mul_lo_u32 v3, v2, s24
	v_add_nc_u32_e32 v8, 1, v2
	s_delay_alu instid0(VALU_DEP_2) | instskip(NEXT) | instid1(VALU_DEP_1)
	v_sub_nc_u32_e32 v3, v6, v3
	v_subrev_nc_u32_e32 v9, s24, v3
	v_cmp_le_u32_e32 vcc_lo, s24, v3
	s_wait_alu 0xfffd
	s_delay_alu instid0(VALU_DEP_2) | instskip(NEXT) | instid1(VALU_DEP_1)
	v_dual_cndmask_b32 v3, v3, v9 :: v_dual_cndmask_b32 v2, v2, v8
	v_cmp_le_u32_e32 vcc_lo, s24, v3
	s_delay_alu instid0(VALU_DEP_2) | instskip(SKIP_1) | instid1(VALU_DEP_1)
	v_add_nc_u32_e32 v8, 1, v2
	s_wait_alu 0xfffd
	v_cndmask_b32_e32 v64, v2, v8, vcc_lo
.LBB0_6:                                ;   in Loop: Header=BB0_2 Depth=1
	s_wait_alu 0xfffe
	s_or_b32 exec_lo, exec_lo, s2
	v_mul_lo_u32 v8, v65, s24
	s_delay_alu instid0(VALU_DEP_2)
	v_mul_lo_u32 v9, v64, s25
	s_load_b64 s[26:27], s[18:19], 0x0
	v_mad_co_u64_u32 v[2:3], null, v64, s24, 0
	s_load_b64 s[24:25], s[16:17], 0x0
	s_add_nc_u64 s[20:21], s[20:21], 1
	s_add_nc_u64 s[16:17], s[16:17], 8
	s_wait_alu 0xfffe
	v_cmp_ge_u64_e64 s2, s[20:21], s[10:11]
	s_add_nc_u64 s[18:19], s[18:19], 8
	s_add_nc_u64 s[22:23], s[22:23], 8
	v_add3_u32 v3, v3, v9, v8
	v_sub_co_u32 v2, vcc_lo, v6, v2
	s_wait_alu 0xfffd
	s_delay_alu instid0(VALU_DEP_2) | instskip(SKIP_2) | instid1(VALU_DEP_1)
	v_sub_co_ci_u32_e32 v3, vcc_lo, v7, v3, vcc_lo
	s_and_b32 vcc_lo, exec_lo, s2
	s_wait_kmcnt 0x0
	v_mul_lo_u32 v6, s26, v3
	v_mul_lo_u32 v7, s27, v2
	v_mad_co_u64_u32 v[4:5], null, s26, v2, v[4:5]
	v_mul_lo_u32 v3, s24, v3
	v_mul_lo_u32 v8, s25, v2
	v_mad_co_u64_u32 v[62:63], null, s24, v2, v[62:63]
	s_delay_alu instid0(VALU_DEP_4) | instskip(NEXT) | instid1(VALU_DEP_2)
	v_add3_u32 v5, v7, v5, v6
	v_add3_u32 v63, v8, v63, v3
	s_wait_alu 0xfffe
	s_cbranch_vccnz .LBB0_8
; %bb.7:                                ;   in Loop: Header=BB0_2 Depth=1
	v_dual_mov_b32 v6, v64 :: v_dual_mov_b32 v7, v65
	s_branch .LBB0_2
.LBB0_8:
	s_load_b64 s[0:1], s[0:1], 0x28
	v_mul_hi_u32 v1, 0x3483484, v0
	s_lshl_b64 s[10:11], s[10:11], 3
                                        ; implicit-def: $vgpr85
	s_wait_kmcnt 0x0
	v_cmp_gt_u64_e32 vcc_lo, s[0:1], v[64:65]
	v_cmp_le_u64_e64 s0, s[0:1], v[64:65]
	s_delay_alu instid0(VALU_DEP_1)
	s_and_saveexec_b32 s1, s0
	s_wait_alu 0xfffe
	s_xor_b32 s0, exec_lo, s1
; %bb.9:
	v_mul_u32_u24_e32 v1, 0x4e, v1
                                        ; implicit-def: $vgpr4_vgpr5
	s_delay_alu instid0(VALU_DEP_1)
	v_sub_nc_u32_e32 v85, v0, v1
                                        ; implicit-def: $vgpr1
                                        ; implicit-def: $vgpr0
; %bb.10:
	s_wait_alu 0xfffe
	s_or_saveexec_b32 s1, s0
	s_add_nc_u64 s[2:3], s[14:15], s[10:11]
                                        ; implicit-def: $vgpr46_vgpr47
                                        ; implicit-def: $vgpr22_vgpr23
                                        ; implicit-def: $vgpr42_vgpr43
                                        ; implicit-def: $vgpr18_vgpr19
                                        ; implicit-def: $vgpr38_vgpr39
                                        ; implicit-def: $vgpr14_vgpr15
                                        ; implicit-def: $vgpr34_vgpr35
                                        ; implicit-def: $vgpr10_vgpr11
                                        ; implicit-def: $vgpr30_vgpr31
                                        ; implicit-def: $vgpr6_vgpr7
                                        ; implicit-def: $vgpr26_vgpr27
                                        ; implicit-def: $vgpr2_vgpr3
	s_wait_alu 0xfffe
	s_xor_b32 exec_lo, exec_lo, s1
	s_cbranch_execz .LBB0_12
; %bb.11:
	s_add_nc_u64 s[10:11], s[12:13], s[10:11]
	s_load_b64 s[10:11], s[10:11], 0x0
	s_wait_kmcnt 0x0
	v_mul_lo_u32 v6, s11, v64
	v_mul_lo_u32 v7, s10, v65
	v_mad_co_u64_u32 v[2:3], null, s10, v64, 0
	s_delay_alu instid0(VALU_DEP_1) | instskip(SKIP_1) | instid1(VALU_DEP_2)
	v_add3_u32 v3, v3, v7, v6
	v_mul_u32_u24_e32 v6, 0x4e, v1
	v_lshlrev_b64_e32 v[1:2], 4, v[2:3]
	v_lshlrev_b64_e32 v[3:4], 4, v[4:5]
	s_delay_alu instid0(VALU_DEP_3) | instskip(NEXT) | instid1(VALU_DEP_3)
	v_sub_nc_u32_e32 v85, v0, v6
	v_add_co_u32 v0, s0, s4, v1
	s_wait_alu 0xf1ff
	s_delay_alu instid0(VALU_DEP_4) | instskip(NEXT) | instid1(VALU_DEP_3)
	v_add_co_ci_u32_e64 v1, s0, s5, v2, s0
	v_lshlrev_b32_e32 v2, 4, v85
	s_delay_alu instid0(VALU_DEP_3) | instskip(SKIP_1) | instid1(VALU_DEP_3)
	v_add_co_u32 v0, s0, v0, v3
	s_wait_alu 0xf1ff
	v_add_co_ci_u32_e64 v1, s0, v1, v4, s0
	s_delay_alu instid0(VALU_DEP_2) | instskip(SKIP_1) | instid1(VALU_DEP_2)
	v_add_co_u32 v44, s0, v0, v2
	s_wait_alu 0xf1ff
	v_add_co_ci_u32_e64 v45, s0, 0, v1, s0
	s_clause 0xb
	global_load_b128 v[0:3], v[44:45], off
	global_load_b128 v[4:7], v[44:45], off offset:1248
	global_load_b128 v[24:27], v[44:45], off offset:7488
	;; [unrolled: 1-line block ×11, first 2 shown]
.LBB0_12:
	s_or_b32 exec_lo, exec_lo, s1
	s_wait_loadcnt 0x9
	v_add_f64_e64 v[49:50], v[0:1], -v[24:25]
	v_add_f64_e64 v[53:54], v[2:3], -v[26:27]
	s_wait_loadcnt 0x8
	v_add_f64_e64 v[28:29], v[4:5], -v[28:29]
	v_add_f64_e64 v[57:58], v[6:7], -v[30:31]
	;; [unrolled: 3-line block ×6, first 2 shown]
	v_mul_hi_u32 v24, 0xaaaaaaab, v48
	v_add_nc_u32_e32 v90, 0x4e, v85
	v_add_nc_u32_e32 v88, 0x9c, v85
	;; [unrolled: 1-line block ×5, first 2 shown]
	v_and_b32_e32 v59, 1, v85
	s_load_b64 s[2:3], s[2:3], 0x0
	v_lshrrev_b32_e32 v24, 1, v24
	v_lshlrev_b32_e32 v66, 1, v90
	v_cmp_gt_u32_e64 s0, 0x48, v85
	s_delay_alu instid0(VALU_DEP_3) | instskip(NEXT) | instid1(VALU_DEP_1)
	v_lshl_add_u32 v24, v24, 1, v24
	v_sub_nc_u32_e32 v24, v48, v24
	v_fma_f64 v[47:48], v[0:1], 2.0, -v[49:50]
	v_fma_f64 v[51:52], v[2:3], 2.0, -v[53:54]
	;; [unrolled: 1-line block ×12, first 2 shown]
	v_mul_u32_u24_e32 v0, 0x3a8, v24
	s_delay_alu instid0(VALU_DEP_1) | instskip(SKIP_1) | instid1(VALU_DEP_2)
	v_lshlrev_b32_e32 v67, 3, v0
	v_lshlrev_b32_e32 v0, 3, v85
	v_add_nc_u32_e32 v83, 0, v67
	s_delay_alu instid0(VALU_DEP_2) | instskip(NEXT) | instid1(VALU_DEP_2)
	v_add3_u32 v86, 0, v0, v67
	v_lshl_add_u32 v1, v85, 4, v83
	s_delay_alu instid0(VALU_DEP_2)
	v_add_nc_u32_e32 v3, 0x800, v86
	v_lshl_add_u32 v4, v90, 4, v83
	v_lshl_add_u32 v5, v88, 4, v83
	v_add_nc_u32_e32 v2, 0x1000, v86
	v_lshl_add_u32 v8, v89, 4, v83
	v_add_nc_u32_e32 v77, 0x400, v86
	;; [unrolled: 2-line block ×3, first 2 shown]
	v_add_nc_u32_e32 v0, 0x1400, v86
	v_lshl_add_u32 v10, v92, 4, v83
	ds_store_b128 v1, v[47:50]
	ds_store_b128 v4, v[26:29]
	;; [unrolled: 1-line block ×6, first 2 shown]
	global_wb scope:SCOPE_SE
	s_wait_dscnt 0x0
	s_wait_kmcnt 0x0
	s_barrier_signal -1
	s_barrier_wait -1
	global_inv scope:SCOPE_SE
	ds_load_2addr_b64 v[38:41], v3 offset0:134 offset1:212
	ds_load_2addr_b64 v[97:100], v86 offset0:78 offset1:156
	;; [unrolled: 1-line block ×5, first 2 shown]
	ds_load_b64 v[6:7], v87
	ds_load_b64 v[28:29], v86 offset:6864
	global_wb scope:SCOPE_SE
	s_wait_dscnt 0x0
	s_barrier_signal -1
	s_barrier_wait -1
	global_inv scope:SCOPE_SE
	ds_store_b128 v1, v[51:54]
	ds_store_b128 v4, v[55:58]
	;; [unrolled: 1-line block ×6, first 2 shown]
	v_lshlrev_b32_e32 v1, 4, v59
	global_wb scope:SCOPE_SE
	s_wait_dscnt 0x0
	s_barrier_signal -1
	s_barrier_wait -1
	global_inv scope:SCOPE_SE
	global_load_b128 v[42:45], v1, s[8:9]
	ds_load_2addr_b64 v[30:33], v3 offset0:134 offset1:212
	ds_load_2addr_b64 v[50:53], v2 offset0:34 offset1:112
	;; [unrolled: 1-line block ×3, first 2 shown]
	ds_load_b64 v[73:74], v86 offset:6864
	ds_load_b64 v[75:76], v87
	v_lshlrev_b32_e32 v70, 1, v85
	v_lshlrev_b32_e32 v68, 1, v88
	;; [unrolled: 1-line block ×3, first 2 shown]
	v_and_or_b32 v79, 0x1fc, v66, v59
	s_delay_alu instid0(VALU_DEP_4) | instskip(NEXT) | instid1(VALU_DEP_4)
	v_and_or_b32 v54, 0xfc, v70, v59
	v_and_or_b32 v80, 0x3fc, v68, v59
	s_delay_alu instid0(VALU_DEP_4) | instskip(NEXT) | instid1(VALU_DEP_4)
	v_and_or_b32 v81, 0x3fc, v69, v59
	v_lshl_add_u32 v79, v79, 3, v83
	s_delay_alu instid0(VALU_DEP_4) | instskip(NEXT) | instid1(VALU_DEP_4)
	v_lshl_add_u32 v78, v54, 3, v83
	v_lshl_add_u32 v80, v80, 3, v83
	s_delay_alu instid0(VALU_DEP_4)
	v_lshl_add_u32 v81, v81, 3, v83
	s_wait_loadcnt_dscnt 0x4
	v_mul_f64_e32 v[0:1], v[32:33], v[44:45]
	s_wait_dscnt 0x3
	v_mul_f64_e32 v[4:5], v[50:51], v[44:45]
	v_mul_f64_e32 v[8:9], v[52:53], v[44:45]
	s_wait_dscnt 0x2
	v_mul_f64_e32 v[10:11], v[46:47], v[44:45]
	;; [unrolled: 3-line block ×3, first 2 shown]
	v_fma_f64 v[0:1], v[40:41], v[42:43], v[0:1]
	v_fma_f64 v[4:5], v[34:35], v[42:43], v[4:5]
	;; [unrolled: 1-line block ×6, first 2 shown]
	v_add_f64_e64 v[8:9], v[6:7], -v[0:1]
	v_add_f64_e64 v[20:21], v[97:98], -v[4:5]
	;; [unrolled: 1-line block ×6, first 2 shown]
	v_fma_f64 v[71:72], v[6:7], 2.0, -v[8:9]
	v_fma_f64 v[10:11], v[97:98], 2.0, -v[20:21]
	;; [unrolled: 1-line block ×6, first 2 shown]
	v_lshlrev_b32_e32 v38, 1, v91
	v_lshlrev_b32_e32 v39, 1, v92
	s_delay_alu instid0(VALU_DEP_2) | instskip(NEXT) | instid1(VALU_DEP_2)
	v_and_or_b32 v38, 0x3fc, v38, v59
	v_and_or_b32 v39, 0x7fc, v39, v59
	ds_load_2addr_b64 v[58:61], v86 offset0:78 offset1:156
	ds_load_2addr_b64 v[54:57], v77 offset0:106 offset1:184
	global_wb scope:SCOPE_SE
	s_wait_dscnt 0x0
	s_barrier_signal -1
	v_lshl_add_u32 v82, v38, 3, v83
	v_lshl_add_u32 v83, v39, 3, v83
	s_barrier_wait -1
	global_inv scope:SCOPE_SE
	ds_store_2addr_b64 v78, v[71:72], v[8:9] offset1:2
	ds_store_2addr_b64 v79, v[10:11], v[20:21] offset1:2
	;; [unrolled: 1-line block ×6, first 2 shown]
	global_wb scope:SCOPE_SE
	s_wait_dscnt 0x0
	s_barrier_signal -1
	s_barrier_wait -1
	global_inv scope:SCOPE_SE
	s_and_saveexec_b32 s1, s0
	s_cbranch_execz .LBB0_14
; %bb.13:
	v_add_nc_u32_e32 v0, 0xc00, v86
	v_add_nc_u32_e32 v1, 0x1800, v86
	ds_load_b64 v[71:72], v87
	ds_load_2addr_b64 v[8:11], v86 offset0:72 offset1:144
	ds_load_2addr_b64 v[20:23], v77 offset0:88 offset1:160
	;; [unrolled: 1-line block ×6, first 2 shown]
.LBB0_14:
	s_wait_alu 0xfffe
	s_or_b32 exec_lo, exec_lo, s1
	v_mul_f64_e32 v[38:39], v[40:41], v[44:45]
	v_mul_f64_e32 v[34:35], v[34:35], v[44:45]
	;; [unrolled: 1-line block ×6, first 2 shown]
	global_wb scope:SCOPE_SE
	s_wait_dscnt 0x0
	s_barrier_signal -1
	s_barrier_wait -1
	global_inv scope:SCOPE_SE
	v_fma_f64 v[32:33], v[32:33], v[42:43], -v[38:39]
	v_fma_f64 v[34:35], v[50:51], v[42:43], -v[34:35]
	;; [unrolled: 1-line block ×6, first 2 shown]
	v_add_f64_e64 v[24:25], v[75:76], -v[32:33]
	v_add_f64_e64 v[44:45], v[58:59], -v[34:35]
	;; [unrolled: 1-line block ×6, first 2 shown]
	v_fma_f64 v[48:49], v[75:76], 2.0, -v[24:25]
	v_fma_f64 v[26:27], v[58:59], 2.0, -v[44:45]
	;; [unrolled: 1-line block ×6, first 2 shown]
	ds_store_2addr_b64 v78, v[48:49], v[24:25] offset1:2
	ds_store_2addr_b64 v79, v[26:27], v[44:45] offset1:2
	;; [unrolled: 1-line block ×6, first 2 shown]
	global_wb scope:SCOPE_SE
	s_wait_dscnt 0x0
	s_barrier_signal -1
	s_barrier_wait -1
	global_inv scope:SCOPE_SE
	s_and_saveexec_b32 s1, s0
	s_cbranch_execz .LBB0_16
; %bb.15:
	v_add_nc_u32_e32 v28, 0x400, v86
	v_add_nc_u32_e32 v29, 0x800, v86
	;; [unrolled: 1-line block ×5, first 2 shown]
	ds_load_b64 v[48:49], v87
	ds_load_2addr_b64 v[24:27], v86 offset0:72 offset1:144
	ds_load_2addr_b64 v[44:47], v28 offset0:88 offset1:160
	;; [unrolled: 1-line block ×6, first 2 shown]
.LBB0_16:
	s_wait_alu 0xfffe
	s_or_b32 exec_lo, exec_lo, s1
	v_and_b32_e32 v93, 3, v85
	s_delay_alu instid0(VALU_DEP_1) | instskip(NEXT) | instid1(VALU_DEP_1)
	v_mul_u32_u24_e32 v50, 12, v93
	v_lshlrev_b32_e32 v58, 4, v50
	s_clause 0xb
	global_load_b128 v[50:53], v58, s[8:9] offset:32
	global_load_b128 v[54:57], v58, s[8:9] offset:48
	;; [unrolled: 1-line block ×12, first 2 shown]
	global_wb scope:SCOPE_SE
	s_wait_loadcnt_dscnt 0x0
	s_barrier_signal -1
	s_barrier_wait -1
	global_inv scope:SCOPE_SE
	v_mul_f64_e32 v[58:59], v[24:25], v[52:53]
	v_mul_f64_e32 v[52:53], v[8:9], v[52:53]
	;; [unrolled: 1-line block ×24, first 2 shown]
	v_fma_f64 v[79:80], v[8:9], v[50:51], v[58:59]
	v_fma_f64 v[81:82], v[24:25], v[50:51], -v[52:53]
	v_fma_f64 v[73:74], v[10:11], v[54:55], v[60:61]
	v_fma_f64 v[77:78], v[26:27], v[54:55], -v[56:57]
	;; [unrolled: 2-line block ×12, first 2 shown]
	v_lshrrev_b32_e32 v97, 2, v85
	s_and_saveexec_b32 s1, s0
	s_cbranch_execz .LBB0_18
; %bb.17:
	v_add_f64_e32 v[0:1], v[71:72], v[79:80]
	s_delay_alu instid0(VALU_DEP_3)
	v_add_f64_e64 v[6:7], v[81:82], -v[20:21]
	v_add_f64_e64 v[2:3], v[75:76], -v[24:25]
	;; [unrolled: 1-line block ×6, first 2 shown]
	s_mov_b32 s20, 0x66966769
	s_mov_b32 s22, 0x2ef20147
	;; [unrolled: 1-line block ×12, first 2 shown]
	s_wait_alu 0xfffe
	s_mov_b32 s30, s24
	s_mov_b32 s34, s20
	v_add_f64_e32 v[14:15], v[79:80], v[83:84]
	s_mov_b32 s5, 0x3fddbe06
	s_mov_b32 s4, 0x4267c47c
	;; [unrolled: 1-line block ×12, first 2 shown]
	v_add_f64_e32 v[108:109], v[73:74], v[34:35]
	s_mov_b32 s18, 0xe00740e9
	s_mov_b32 s19, 0x3fec55a7
	;; [unrolled: 1-line block ×3, first 2 shown]
	v_add_f64_e32 v[0:1], v[0:1], v[73:74]
	v_mul_f64_e32 v[28:29], s[28:29], v[6:7]
	v_mul_f64_e32 v[94:95], s[26:27], v[6:7]
	;; [unrolled: 1-line block ×3, first 2 shown]
	s_wait_alu 0xfffe
	v_mul_f64_e32 v[102:103], s[34:35], v[6:7]
	v_mul_f64_e32 v[104:105], s[30:31], v[6:7]
	;; [unrolled: 1-line block ×7, first 2 shown]
	s_mov_b32 s5, 0xbfddbe06
	v_mul_f64_e32 v[110:111], s[20:21], v[8:9]
	s_wait_alu 0xfffe
	v_mul_f64_e32 v[6:7], s[4:5], v[6:7]
	s_mov_b32 s4, 0x1ea71119
	s_mov_b32 s5, 0x3fe22d96
	v_mul_f64_e32 v[112:113], s[36:37], v[8:9]
	v_mul_f64_e32 v[114:115], s[28:29], v[8:9]
	;; [unrolled: 1-line block ×4, first 2 shown]
	s_mov_b32 s38, s22
	v_mul_f64_e32 v[130:131], s[26:27], v[2:3]
	v_mul_f64_e32 v[132:133], s[30:31], v[2:3]
	;; [unrolled: 1-line block ×5, first 2 shown]
	s_mov_b32 s39, 0x3fcea1e5
	s_mov_b32 s38, s28
	v_mul_f64_e32 v[152:153], s[34:35], v[12:13]
	s_wait_alu 0xfffe
	v_mul_f64_e32 v[150:151], s[38:39], v[12:13]
	v_mul_f64_e32 v[154:155], s[36:37], v[12:13]
	v_add_f64_e32 v[0:1], v[0:1], v[58:59]
	v_fma_f64 v[118:119], v[14:15], s[14:15], -v[28:29]
	v_fma_f64 v[28:29], v[14:15], s[14:15], v[28:29]
	v_fma_f64 v[120:121], v[14:15], s[16:17], -v[94:95]
	v_fma_f64 v[94:95], v[14:15], s[16:17], v[94:95]
	;; [unrolled: 2-line block ×3, first 2 shown]
	v_fma_f64 v[126:127], v[14:15], s[4:5], v[104:105]
	v_fma_f64 v[100:101], v[14:15], s[10:11], v[100:101]
	v_fma_f64 v[102:103], v[14:15], s[12:13], -v[102:103]
	v_fma_f64 v[104:105], v[14:15], s[4:5], -v[104:105]
	;; [unrolled: 1-line block ×3, first 2 shown]
	v_fma_f64 v[30:31], v[108:109], s[18:19], v[30:31]
	v_fma_f64 v[128:129], v[14:15], s[18:19], v[6:7]
	v_fma_f64 v[6:7], v[14:15], s[18:19], -v[6:7]
	v_add_f64_e32 v[14:15], v[58:59], v[60:61]
	v_fma_f64 v[140:141], v[108:109], s[12:13], -v[110:111]
	v_fma_f64 v[110:111], v[108:109], s[12:13], v[110:111]
	v_fma_f64 v[142:143], v[108:109], s[16:17], -v[112:113]
	v_fma_f64 v[112:113], v[108:109], s[16:17], v[112:113]
	;; [unrolled: 2-line block ×5, first 2 shown]
	v_add_f64_e32 v[0:1], v[0:1], v[52:53]
	v_add_f64_e32 v[108:109], v[71:72], v[118:119]
	;; [unrolled: 1-line block ×14, first 2 shown]
	v_mul_f64_e32 v[128:129], s[24:25], v[12:13]
	v_mul_f64_e32 v[12:13], s[22:23], v[12:13]
	v_fma_f64 v[156:157], v[14:15], s[16:17], -v[130:131]
	v_fma_f64 v[130:131], v[14:15], s[16:17], v[130:131]
	v_fma_f64 v[158:159], v[14:15], s[4:5], -v[132:133]
	v_fma_f64 v[132:133], v[14:15], s[4:5], v[132:133]
	;; [unrolled: 2-line block ×6, first 2 shown]
	v_add_f64_e32 v[0:1], v[0:1], v[44:45]
	v_add_f64_e32 v[14:15], v[138:139], v[108:109]
	;; [unrolled: 1-line block ×12, first 2 shown]
	v_mul_f64_e32 v[116:117], s[22:23], v[10:11]
	v_add_f64_e32 v[8:9], v[8:9], v[126:127]
	v_add_f64_e32 v[6:7], v[148:149], v[6:7]
	v_mul_f64_e32 v[118:119], s[38:39], v[10:11]
	v_mul_f64_e32 v[120:121], s[30:31], v[10:11]
	v_mul_f64_e32 v[122:123], s[20:21], v[10:11]
	v_fma_f64 v[124:125], v[71:72], s[4:5], -v[128:129]
	v_fma_f64 v[126:127], v[71:72], s[4:5], v[128:129]
	v_fma_f64 v[128:129], v[71:72], s[14:15], -v[150:151]
	v_fma_f64 v[138:139], v[71:72], s[14:15], v[150:151]
	;; [unrolled: 2-line block ×6, first 2 shown]
	v_mul_f64_e32 v[10:11], s[26:27], v[10:11]
	v_add_f64_e32 v[0:1], v[0:1], v[26:27]
	v_add_f64_e32 v[14:15], v[156:157], v[14:15]
	;; [unrolled: 1-line block ×11, first 2 shown]
	v_mul_f64_e32 v[104:105], s[20:21], v[4:5]
	v_mul_f64_e32 v[114:115], s[22:23], v[4:5]
	v_add_f64_e32 v[2:3], v[2:3], v[8:9]
	v_add_f64_e32 v[6:7], v[166:167], v[6:7]
	v_add_f64_e32 v[8:9], v[26:27], v[40:41]
	v_mul_f64_e32 v[130:131], s[24:25], v[4:5]
	v_mul_f64_e32 v[132:133], s[26:27], v[4:5]
	;; [unrolled: 1-line block ×3, first 2 shown]
	v_fma_f64 v[134:135], v[112:113], s[10:11], -v[116:117]
	v_fma_f64 v[116:117], v[112:113], s[10:11], v[116:117]
	v_fma_f64 v[136:137], v[112:113], s[18:19], -v[98:99]
	v_fma_f64 v[98:99], v[112:113], s[18:19], v[98:99]
	v_fma_f64 v[152:153], v[112:113], s[14:15], -v[118:119]
	v_fma_f64 v[154:155], v[112:113], s[4:5], -v[120:121]
	v_fma_f64 v[120:121], v[112:113], s[4:5], v[120:121]
	v_fma_f64 v[156:157], v[112:113], s[12:13], -v[122:123]
	v_fma_f64 v[122:123], v[112:113], s[12:13], v[122:123]
	v_fma_f64 v[118:119], v[112:113], s[14:15], v[118:119]
	v_fma_f64 v[158:159], v[112:113], s[16:17], -v[10:11]
	v_fma_f64 v[10:11], v[112:113], s[16:17], v[10:11]
	v_add_f64_e32 v[0:1], v[0:1], v[40:41]
	v_add_f64_e32 v[14:15], v[124:125], v[14:15]
	;; [unrolled: 1-line block ×13, first 2 shown]
	v_fma_f64 v[12:13], v[8:9], s[12:13], -v[104:105]
	v_fma_f64 v[104:105], v[8:9], s[12:13], v[104:105]
	v_fma_f64 v[110:111], v[8:9], s[10:11], -v[114:115]
	v_fma_f64 v[112:113], v[8:9], s[10:11], v[114:115]
	v_fma_f64 v[114:115], v[8:9], s[4:5], -v[130:131]
	v_fma_f64 v[124:125], v[8:9], s[4:5], v[130:131]
	v_fma_f64 v[126:127], v[8:9], s[16:17], -v[132:133]
	v_fma_f64 v[128:129], v[8:9], s[16:17], v[132:133]
	v_fma_f64 v[130:131], v[8:9], s[18:19], -v[18:19]
	v_fma_f64 v[18:19], v[8:9], s[18:19], v[18:19]
	v_fma_f64 v[132:133], v[8:9], s[14:15], -v[4:5]
	v_fma_f64 v[4:5], v[8:9], s[14:15], v[4:5]
	v_add_f64_e32 v[0:1], v[0:1], v[46:47]
	v_add_f64_e32 v[8:9], v[134:135], v[14:15]
	v_add_f64_e32 v[14:15], v[116:117], v[28:29]
	v_add_f64_e32 v[28:29], v[136:137], v[30:31]
	v_add_f64_e32 v[30:31], v[98:99], v[71:72]
	v_add_f64_e32 v[71:72], v[152:153], v[94:95]
	v_add_f64_e32 v[94:95], v[120:121], v[106:107]
	v_add_f64_e32 v[98:99], v[122:123], v[108:109]
	v_add_f64_e32 v[16:17], v[118:119], v[16:17]
	v_add_f64_e32 v[100:101], v[154:155], v[100:101]
	v_add_f64_e32 v[102:103], v[156:157], v[102:103]
	v_add_f64_e32 v[2:3], v[10:11], v[2:3]
	v_add_f64_e32 v[6:7], v[158:159], v[6:7]
	v_add_f64_e32 v[0:1], v[0:1], v[54:55]
	v_add_f64_e32 v[8:9], v[12:13], v[8:9]
	v_add_f64_e32 v[10:11], v[104:105], v[14:15]
	v_add_f64_e32 v[12:13], v[110:111], v[28:29]
	v_add_f64_e32 v[14:15], v[112:113], v[30:31]
	v_add_f64_e32 v[28:29], v[114:115], v[71:72]
	v_add_f64_e32 v[30:31], v[128:129], v[94:95]
	v_add_f64_e32 v[18:19], v[18:19], v[98:99]
	v_add_f64_e32 v[16:17], v[124:125], v[16:17]
	v_add_f64_e32 v[71:72], v[126:127], v[100:101]
	v_add_f64_e32 v[94:95], v[130:131], v[102:103]
	v_add_f64_e32 v[2:3], v[4:5], v[2:3]
	v_add_f64_e32 v[4:5], v[132:133], v[6:7]
	v_mul_u32_u24_e32 v6, 52, v97
	s_delay_alu instid0(VALU_DEP_1) | instskip(NEXT) | instid1(VALU_DEP_1)
	v_or_b32_e32 v6, v6, v93
	v_lshlrev_b32_e32 v6, 3, v6
	s_delay_alu instid0(VALU_DEP_1) | instskip(SKIP_1) | instid1(VALU_DEP_1)
	v_add3_u32 v6, 0, v6, v67
	v_add_f64_e32 v[0:1], v[0:1], v[60:61]
	v_add_f64_e32 v[0:1], v[0:1], v[34:35]
	s_delay_alu instid0(VALU_DEP_1)
	v_add_f64_e32 v[0:1], v[0:1], v[83:84]
	ds_store_2addr_b64 v6, v[18:19], v[30:31] offset0:8 offset1:12
	ds_store_2addr_b64 v6, v[16:17], v[14:15] offset0:16 offset1:20
	;; [unrolled: 1-line block ×5, first 2 shown]
	ds_store_2addr_b64 v6, v[0:1], v[2:3] offset1:4
	ds_store_b64 v6, v[4:5] offset:384
.LBB0_18:
	s_wait_alu 0xfffe
	s_or_b32 exec_lo, exec_lo, s1
	v_add_nc_u32_e32 v72, 0x800, v86
	v_add_nc_u32_e32 v94, 0x1000, v86
	;; [unrolled: 1-line block ×4, first 2 shown]
	global_wb scope:SCOPE_SE
	s_wait_dscnt 0x0
	s_barrier_signal -1
	s_barrier_wait -1
	global_inv scope:SCOPE_SE
	ds_load_2addr_b64 v[0:3], v72 offset0:134 offset1:212
	ds_load_2addr_b64 v[4:7], v86 offset0:78 offset1:156
	;; [unrolled: 1-line block ×5, first 2 shown]
	ds_load_b64 v[28:29], v87
	ds_load_b64 v[30:31], v86 offset:6864
	global_wb scope:SCOPE_SE
	s_wait_dscnt 0x0
	s_barrier_signal -1
	s_barrier_wait -1
	global_inv scope:SCOPE_SE
	s_and_saveexec_b32 s33, s0
	s_cbranch_execz .LBB0_20
; %bb.19:
	v_add_f64_e32 v[98:99], v[48:49], v[81:82]
	v_add_f64_e32 v[81:82], v[81:82], v[20:21]
	s_mov_b32 s0, 0xe00740e9
	s_mov_b32 s30, 0x1ea71119
	;; [unrolled: 1-line block ×11, first 2 shown]
	v_add_f64_e64 v[79:80], v[79:80], -v[83:84]
	s_mov_b32 s43, 0xbfef11f4
	s_mov_b32 s4, 0x4267c47c
	s_mov_b32 s14, 0x42a4c3d2
	s_mov_b32 s12, 0x66966769
	s_mov_b32 s5, 0x3fddbe06
	s_mov_b32 s15, 0x3fea55e2
	s_mov_b32 s19, 0xbfea55e2
	s_mov_b32 s13, 0x3fefc445
	s_mov_b32 s20, 0x2ef20147
	s_mov_b32 s24, 0x24c2f84
	s_wait_alu 0xfffe
	s_mov_b32 s18, s14
	s_mov_b32 s21, 0x3fedeba7
	;; [unrolled: 1-line block ×8, first 2 shown]
	v_add_f64_e64 v[34:35], v[73:74], -v[34:35]
	s_wait_alu 0xfffe
	s_mov_b32 s40, s38
	s_mov_b32 s37, 0xbfe5384d
	s_mov_b32 s36, s24
	s_mov_b32 s17, 0xbfefc445
	s_mov_b32 s16, s12
	v_add_f64_e32 v[98:99], v[98:99], v[77:78]
	v_add_f64_e32 v[77:78], v[77:78], v[22:23]
	v_mul_f64_e32 v[83:84], s[0:1], v[81:82]
	v_mul_f64_e32 v[100:101], s[30:31], v[81:82]
	;; [unrolled: 1-line block ×6, first 2 shown]
	s_mov_b32 s11, 0xbfddbe06
	s_mov_b32 s10, s4
	v_add_f64_e64 v[58:59], v[58:59], -v[60:61]
	v_add_f64_e64 v[52:53], v[52:53], -v[54:55]
	;; [unrolled: 1-line block ×4, first 2 shown]
	v_add_f64_e32 v[98:99], v[98:99], v[75:76]
	v_add_f64_e32 v[75:76], v[75:76], v[24:25]
	v_mul_f64_e32 v[73:74], s[30:31], v[77:78]
	v_mul_f64_e32 v[108:109], s[28:29], v[77:78]
	;; [unrolled: 1-line block ×6, first 2 shown]
	v_fma_f64 v[116:117], v[79:80], s[4:5], v[83:84]
	v_fma_f64 v[118:119], v[79:80], s[14:15], v[100:101]
	;; [unrolled: 1-line block ×9, first 2 shown]
	s_wait_alu 0xfffe
	v_fma_f64 v[106:107], v[79:80], s[36:37], v[106:107]
	v_fma_f64 v[102:103], v[79:80], s[16:17], v[102:103]
	;; [unrolled: 1-line block ×3, first 2 shown]
	v_add_f64_e32 v[98:99], v[98:99], v[56:57]
	v_add_f64_e32 v[56:57], v[56:57], v[32:33]
	v_mul_f64_e32 v[60:61], s[26:27], v[75:76]
	v_mul_f64_e32 v[83:84], s[42:43], v[75:76]
	;; [unrolled: 1-line block ×6, first 2 shown]
	v_fma_f64 v[134:135], v[34:35], s[14:15], v[73:74]
	v_fma_f64 v[73:74], v[34:35], s[18:19], v[73:74]
	;; [unrolled: 1-line block ×12, first 2 shown]
	v_add_f64_e32 v[77:78], v[48:49], v[116:117]
	v_add_f64_e32 v[116:117], v[48:49], v[118:119]
	;; [unrolled: 1-line block ×14, first 2 shown]
	v_mul_f64_e32 v[54:55], s[28:29], v[56:57]
	v_mul_f64_e32 v[79:80], s[34:35], v[56:57]
	;; [unrolled: 1-line block ×6, first 2 shown]
	v_fma_f64 v[150:151], v[58:59], s[12:13], v[60:61]
	v_fma_f64 v[60:61], v[58:59], s[16:17], v[60:61]
	;; [unrolled: 1-line block ×12, first 2 shown]
	v_add_f64_e32 v[75:76], v[134:135], v[77:78]
	v_add_f64_e32 v[77:78], v[136:137], v[116:117]
	;; [unrolled: 1-line block ×13, first 2 shown]
	v_mul_f64_e32 v[46:47], s[26:27], v[50:51]
	v_mul_f64_e32 v[73:74], s[30:31], v[50:51]
	;; [unrolled: 1-line block ×3, first 2 shown]
	v_fma_f64 v[110:111], v[52:53], s[20:21], v[54:55]
	v_fma_f64 v[54:55], v[52:53], s[22:23], v[54:55]
	;; [unrolled: 1-line block ×12, first 2 shown]
	v_add_f64_e32 v[56:57], v[150:151], v[75:76]
	v_add_f64_e32 v[75:76], v[152:153], v[77:78]
	;; [unrolled: 1-line block ×13, first 2 shown]
	v_mul_f64_e32 v[42:43], s[34:35], v[50:51]
	v_fma_f64 v[128:129], v[44:45], s[16:17], v[46:47]
	v_fma_f64 v[46:47], v[44:45], s[12:13], v[46:47]
	;; [unrolled: 1-line block ×6, first 2 shown]
	v_add_f64_e32 v[34:35], v[52:53], v[34:35]
	v_add_f64_e32 v[52:53], v[136:137], v[58:59]
	;; [unrolled: 1-line block ×4, first 2 shown]
	v_mul_f64_e32 v[98:99], s[42:43], v[50:51]
	v_mul_f64_e32 v[50:51], s[28:29], v[50:51]
	;; [unrolled: 1-line block ×5, first 2 shown]
	v_fma_f64 v[118:119], v[44:45], s[24:25], v[42:43]
	v_fma_f64 v[42:43], v[44:45], s[36:37], v[42:43]
	v_add_f64_e32 v[32:33], v[38:39], v[32:33]
	v_add_f64_e32 v[38:39], v[60:61], v[48:49]
	v_mul_f64_e32 v[48:49], s[0:1], v[36:37]
	v_mul_f64_e32 v[60:61], s[34:35], v[36:37]
	;; [unrolled: 1-line block ×3, first 2 shown]
	v_fma_f64 v[132:133], v[44:45], s[40:41], v[98:99]
	v_fma_f64 v[98:99], v[44:45], s[38:39], v[98:99]
	;; [unrolled: 1-line block ×4, first 2 shown]
	v_add_f64_e32 v[50:51], v[110:111], v[56:57]
	v_add_f64_e32 v[56:57], v[114:115], v[75:76]
	;; [unrolled: 1-line block ×8, first 2 shown]
	v_fma_f64 v[108:109], v[26:27], s[18:19], v[102:103]
	v_fma_f64 v[102:103], v[26:27], s[14:15], v[102:103]
	;; [unrolled: 1-line block ×4, first 2 shown]
	v_add_f64_e32 v[24:25], v[32:33], v[24:25]
	v_add_f64_e32 v[32:33], v[54:55], v[38:39]
	v_fma_f64 v[38:39], v[26:27], s[38:39], v[40:41]
	v_fma_f64 v[40:41], v[26:27], s[40:41], v[40:41]
	;; [unrolled: 1-line block ×8, first 2 shown]
	v_add_f64_e32 v[36:37], v[118:119], v[50:51]
	v_add_f64_e32 v[50:51], v[128:129], v[56:57]
	;; [unrolled: 1-line block ×26, first 2 shown]
	v_mul_u32_u24_e32 v24, 52, v97
	s_delay_alu instid0(VALU_DEP_1) | instskip(NEXT) | instid1(VALU_DEP_1)
	v_or_b32_e32 v24, v24, v93
	v_lshlrev_b32_e32 v24, 3, v24
	s_delay_alu instid0(VALU_DEP_1)
	v_add3_u32 v24, 0, v24, v67
	ds_store_2addr_b64 v24, v[36:37], v[42:43] offset0:8 offset1:12
	ds_store_2addr_b64 v24, v[46:47], v[50:51] offset0:16 offset1:20
	;; [unrolled: 1-line block ×5, first 2 shown]
	ds_store_2addr_b64 v24, v[20:21], v[32:33] offset1:4
	ds_store_b64 v24, v[22:23] offset:384
.LBB0_20:
	s_or_b32 exec_lo, exec_lo, s33
	v_dual_mov_b32 v21, 0 :: v_dual_and_b32 v24, 0xff, v90
	v_and_b32_e32 v25, 0xff, v88
	v_and_b32_e32 v26, 0xffff, v89
	;; [unrolled: 1-line block ×3, first 2 shown]
	s_delay_alu instid0(VALU_DEP_4)
	v_dual_mov_b32 v71, v21 :: v_dual_and_b32 v32, 0xffff, v92
	v_mul_lo_u16 v24, 0x4f, v24
	v_mul_lo_u16 v93, 0x4f, v25
	v_mul_u32_u24_e32 v97, 0x4ec5, v26
	v_mul_u32_u24_e32 v25, 0x4ec5, v27
	;; [unrolled: 1-line block ×3, first 2 shown]
	v_lshrrev_b16 v98, 12, v24
	v_subrev_nc_u32_e32 v20, 52, v85
	v_cmp_gt_u32_e64 s0, 52, v85
	v_lshrrev_b16 v99, 12, v93
	v_lshrrev_b32_e32 v100, 20, v97
	v_lshrrev_b32_e32 v101, 20, v25
	;; [unrolled: 1-line block ×3, first 2 shown]
	v_mul_lo_u16 v24, v98, 52
	s_wait_alu 0xf1ff
	v_cndmask_b32_e64 v20, v20, v85, s0
	v_mul_lo_u16 v25, v99, 52
	v_mul_lo_u16 v26, v100, 52
	;; [unrolled: 1-line block ×4, first 2 shown]
	v_sub_nc_u16 v24, v90, v24
	v_lshlrev_b64_e32 v[22:23], 4, v[20:21]
	v_sub_nc_u16 v25, v88, v25
	v_sub_nc_u16 v26, v89, v26
	;; [unrolled: 1-line block ×4, first 2 shown]
	v_and_b32_e32 v103, 0xff, v24
	v_and_b32_e32 v104, 0xff, v25
	v_add_co_u32 v22, s0, s8, v22
	v_and_b32_e32 v105, 0xffff, v26
	v_and_b32_e32 v106, 0xffff, v27
	;; [unrolled: 1-line block ×3, first 2 shown]
	s_wait_alu 0xf1ff
	v_add_co_ci_u32_e64 v23, s0, s9, v23, s0
	v_lshlrev_b32_e32 v26, 4, v103
	v_lshlrev_b32_e32 v27, 4, v104
	;; [unrolled: 1-line block ×5, first 2 shown]
	global_wb scope:SCOPE_SE
	s_wait_dscnt 0x0
	s_barrier_signal -1
	s_barrier_wait -1
	global_inv scope:SCOPE_SE
	s_clause 0x5
	global_load_b128 v[22:25], v[22:23], off offset:800
	global_load_b128 v[32:35], v26, s[8:9] offset:800
	global_load_b128 v[36:39], v27, s[8:9] offset:800
	global_load_b128 v[40:43], v40, s[8:9] offset:800
	global_load_b128 v[44:47], v44, s[8:9] offset:800
	global_load_b128 v[48:51], v48, s[8:9] offset:800
	ds_load_2addr_b64 v[52:55], v72 offset0:134 offset1:212
	ds_load_2addr_b64 v[56:59], v94 offset0:34 offset1:112
	;; [unrolled: 1-line block ×3, first 2 shown]
	ds_load_b64 v[26:27], v86 offset:6864
	v_cmp_lt_u32_e64 s0, 51, v85
	v_lshrrev_b16 v110, 13, v93
	s_mov_b32 s4, 0xe8584caa
	s_mov_b32 s5, 0xbfebb67a
	;; [unrolled: 1-line block ×3, first 2 shown]
	s_wait_loadcnt_dscnt 0x503
	v_mul_f64_e32 v[60:61], v[54:55], v[24:25]
	v_mul_f64_e32 v[24:25], v[2:3], v[24:25]
	s_wait_loadcnt_dscnt 0x402
	v_mul_f64_e32 v[77:78], v[56:57], v[34:35]
	s_wait_loadcnt_dscnt 0x201
	v_mul_f64_e32 v[81:82], v[73:74], v[42:43]
	s_wait_loadcnt 0x1
	v_mul_f64_e32 v[83:84], v[75:76], v[46:47]
	v_mul_f64_e32 v[34:35], v[12:13], v[34:35]
	v_mul_f64_e32 v[79:80], v[58:59], v[38:39]
	v_mul_f64_e32 v[38:39], v[14:15], v[38:39]
	v_mul_f64_e32 v[42:43], v[16:17], v[42:43]
	v_mul_f64_e32 v[46:47], v[18:19], v[46:47]
	s_wait_loadcnt_dscnt 0x0
	v_mul_f64_e32 v[91:92], v[26:27], v[50:51]
	v_mul_f64_e32 v[50:51], v[30:31], v[50:51]
	v_fma_f64 v[2:3], v[2:3], v[22:23], v[60:61]
	v_fma_f64 v[22:23], v[54:55], v[22:23], -v[24:25]
	v_fma_f64 v[60:61], v[12:13], v[32:33], v[77:78]
	v_fma_f64 v[16:17], v[16:17], v[40:41], v[81:82]
	;; [unrolled: 1-line block ×3, first 2 shown]
	v_fma_f64 v[24:25], v[56:57], v[32:33], -v[34:35]
	v_fma_f64 v[77:78], v[14:15], v[36:37], v[79:80]
	v_fma_f64 v[32:33], v[58:59], v[36:37], -v[38:39]
	v_fma_f64 v[34:35], v[73:74], v[40:41], -v[42:43]
	;; [unrolled: 1-line block ×3, first 2 shown]
	v_fma_f64 v[30:31], v[30:31], v[48:49], v[91:92]
	v_fma_f64 v[26:27], v[26:27], v[48:49], -v[50:51]
	ds_load_b64 v[38:39], v87
	ds_load_2addr_b64 v[12:15], v86 offset0:78 offset1:156
	s_wait_alu 0xf1ff
	v_cndmask_b32_e64 v49, 0, 0x340, s0
	v_lshlrev_b32_e32 v51, 3, v20
	v_subrev_nc_u32_e32 v48, 26, v85
	v_cmp_gt_u32_e64 s0, 26, v85
	v_lshrrev_b32_e32 v56, 21, v97
	v_add_nc_u32_e32 v50, 0, v49
	v_and_b32_e32 v57, 0xffff, v98
	v_and_b32_e32 v58, 0xffff, v99
	s_wait_alu 0xf1ff
	v_cndmask_b32_e64 v109, v48, v90, s0
	v_lshlrev_b64_e32 v[48:49], 4, v[70:71]
	v_add3_u32 v73, v50, v51, v67
	v_mul_lo_u16 v56, 0x68, v56
	v_mad_u32_u24 v75, 0x340, v57, 0
	v_lshlrev_b32_e32 v20, 1, v109
	v_mad_u32_u24 v76, 0x340, v58, 0
	v_mad_u32_u24 v70, 0x340, v100, 0
	v_sub_nc_u16 v56, v89, v56
	v_lshlrev_b32_e32 v79, 3, v105
	v_lshlrev_b64_e32 v[54:55], 4, v[20:21]
	v_mul_lo_u16 v20, 0x68, v110
	v_mad_u32_u24 v71, 0x340, v101, 0
	v_and_b32_e32 v111, 0xffff, v56
	v_lshlrev_b32_e32 v80, 3, v106
	v_mad_u32_u24 v74, 0x340, v102, 0
	v_sub_nc_u16 v20, v88, v20
	v_add_f64_e64 v[2:3], v[28:29], -v[2:3]
	s_wait_dscnt 0x1
	v_add_f64_e64 v[22:23], v[38:39], -v[22:23]
	v_add_f64_e64 v[40:41], v[4:5], -v[60:61]
	;; [unrolled: 1-line block ×4, first 2 shown]
	ds_load_2addr_b64 v[16:19], v96 offset0:106 offset1:184
	s_wait_dscnt 0x1
	v_add_f64_e64 v[50:51], v[12:13], -v[24:25]
	v_add_f64_e64 v[42:43], v[6:7], -v[77:78]
	;; [unrolled: 1-line block ×3, first 2 shown]
	v_add_co_u32 v24, s0, s8, v48
	v_add_f64_e64 v[30:31], v[0:1], -v[30:31]
	v_add_f64_e64 v[26:27], v[52:53], -v[26:27]
	s_wait_alu 0xf1ff
	v_add_co_ci_u32_e64 v25, s0, s9, v49, s0
	v_add_co_u32 v48, s0, s8, v54
	s_wait_alu 0xf1ff
	v_add_co_ci_u32_e64 v49, s0, s9, v55, s0
	v_lshlrev_b32_e32 v77, 3, v103
	v_lshlrev_b32_e32 v78, 3, v104
	v_and_b32_e32 v20, 0xff, v20
	global_wb scope:SCOPE_SE
	s_wait_dscnt 0x0
	s_barrier_signal -1
	v_add3_u32 v75, v75, v77, v67
	v_add_f64_e64 v[34:35], v[16:17], -v[34:35]
	v_add_f64_e64 v[36:37], v[18:19], -v[36:37]
	v_add3_u32 v76, v76, v78, v67
	v_add3_u32 v77, v70, v79, v67
	;; [unrolled: 1-line block ×3, first 2 shown]
	s_barrier_wait -1
	global_inv scope:SCOPE_SE
	v_lshlrev_b32_e32 v81, 5, v20
	v_cmp_lt_u32_e64 s0, 25, v85
	v_lshlrev_b32_e32 v20, 3, v20
	v_fma_f64 v[28:29], v[28:29], 2.0, -v[2:3]
	v_fma_f64 v[38:39], v[38:39], 2.0, -v[22:23]
	;; [unrolled: 1-line block ×8, first 2 shown]
	v_lshlrev_b32_e32 v12, 3, v107
	v_fma_f64 v[0:1], v[0:1], 2.0, -v[30:31]
	v_fma_f64 v[52:53], v[52:53], 2.0, -v[26:27]
	s_delay_alu instid0(VALU_DEP_3)
	v_add3_u32 v74, v74, v12, v67
	ds_store_2addr_b64 v73, v[28:29], v[2:3] offset1:52
	ds_store_2addr_b64 v75, v[4:5], v[40:41] offset1:52
	;; [unrolled: 1-line block ×6, first 2 shown]
	v_fma_f64 v[58:59], v[16:17], 2.0, -v[34:35]
	v_fma_f64 v[60:61], v[18:19], 2.0, -v[36:37]
	global_wb scope:SCOPE_SE
	s_wait_dscnt 0x0
	s_barrier_signal -1
	s_barrier_wait -1
	global_inv scope:SCOPE_SE
	ds_load_2addr_b64 v[0:3], v96 offset0:106 offset1:184
	ds_load_2addr_b64 v[4:7], v94 offset0:34 offset1:112
	;; [unrolled: 1-line block ×5, first 2 shown]
	ds_load_b64 v[70:71], v87
	ds_load_b64 v[88:89], v86 offset:6864
	global_wb scope:SCOPE_SE
	s_wait_dscnt 0x0
	s_barrier_signal -1
	s_barrier_wait -1
	global_inv scope:SCOPE_SE
	ds_store_2addr_b64 v73, v[38:39], v[22:23] offset1:52
	ds_store_2addr_b64 v75, v[54:55], v[50:51] offset1:52
	;; [unrolled: 1-line block ×6, first 2 shown]
	global_wb scope:SCOPE_SE
	s_wait_dscnt 0x0
	s_barrier_signal -1
	s_barrier_wait -1
	global_inv scope:SCOPE_SE
	s_clause 0x1
	global_load_b128 v[26:29], v[24:25], off offset:1648
	global_load_b128 v[30:33], v[24:25], off offset:1632
	v_lshlrev_b32_e32 v22, 5, v111
	s_clause 0x5
	global_load_b128 v[34:37], v[48:49], off offset:1632
	global_load_b128 v[38:41], v[48:49], off offset:1648
	global_load_b128 v[42:45], v81, s[8:9] offset:1632
	global_load_b128 v[46:49], v81, s[8:9] offset:1648
	;; [unrolled: 1-line block ×4, first 2 shown]
	ds_load_2addr_b64 v[58:61], v96 offset0:106 offset1:184
	ds_load_2addr_b64 v[73:76], v94 offset0:34 offset1:112
	;; [unrolled: 1-line block ×4, first 2 shown]
	ds_load_b64 v[22:23], v86 offset:6864
	s_wait_loadcnt_dscnt 0x502
	v_mul_f64_e32 v[97:98], v[77:78], v[36:37]
	s_wait_loadcnt_dscnt 0x401
	v_mul_f64_e32 v[99:100], v[81:82], v[40:41]
	v_mul_f64_e32 v[92:93], v[75:76], v[28:29]
	;; [unrolled: 1-line block ×3, first 2 shown]
	s_wait_loadcnt 0x3
	v_mul_f64_e32 v[101:102], v[79:80], v[44:45]
	s_wait_loadcnt 0x2
	v_mul_f64_e32 v[103:104], v[83:84], v[48:49]
	;; [unrolled: 2-line block ×3, first 2 shown]
	s_wait_loadcnt_dscnt 0x0
	v_mul_f64_e32 v[107:108], v[22:23], v[56:57]
	v_mul_f64_e32 v[32:33], v[2:3], v[32:33]
	;; [unrolled: 1-line block ×9, first 2 shown]
	v_fma_f64 v[12:13], v[12:13], v[34:35], v[97:98]
	v_fma_f64 v[16:17], v[16:17], v[38:39], v[99:100]
	;; [unrolled: 1-line block ×8, first 2 shown]
	v_fma_f64 v[30:31], v[60:61], v[30:31], -v[32:33]
	v_fma_f64 v[26:27], v[75:76], v[26:27], -v[28:29]
	;; [unrolled: 1-line block ×8, first 2 shown]
	ds_load_b64 v[52:53], v87
	ds_load_2addr_b64 v[2:5], v86 offset0:78 offset1:156
	s_wait_alu 0xf1ff
	v_cndmask_b32_e64 v81, 0, 0x9c0, s0
	s_wait_alu 0xfffe
	s_mov_b32 s0, s4
	global_wb scope:SCOPE_SE
	s_wait_dscnt 0x0
	s_barrier_signal -1
	s_barrier_wait -1
	global_inv scope:SCOPE_SE
	v_add_f64_e32 v[75:76], v[8:9], v[12:13]
	v_add_f64_e32 v[42:43], v[12:13], v[16:17]
	v_add_f64_e64 v[12:13], v[12:13], -v[16:17]
	v_add_f64_e32 v[40:41], v[90:91], v[6:7]
	v_add_f64_e32 v[60:61], v[70:71], v[90:91]
	;; [unrolled: 1-line block ×7, first 2 shown]
	v_add_f64_e64 v[73:74], v[30:31], -v[26:27]
	v_add_f64_e32 v[50:51], v[28:29], v[32:33]
	v_add_f64_e32 v[30:31], v[52:53], v[30:31]
	;; [unrolled: 1-line block ×3, first 2 shown]
	v_add_f64_e64 v[14:15], v[14:15], -v[18:19]
	v_add_f64_e32 v[56:57], v[38:39], v[22:23]
	v_add_f64_e32 v[16:17], v[75:76], v[16:17]
	v_fma_f64 v[8:9], v[42:43], -0.5, v[8:9]
	v_add_f64_e64 v[42:43], v[34:35], -v[36:37]
	v_fma_f64 v[40:41], v[40:41], -0.5, v[70:71]
	v_add_f64_e64 v[70:71], v[28:29], -v[32:33]
	;; [unrolled: 2-line block ×4, first 2 shown]
	v_add_f64_e32 v[28:29], v[2:3], v[28:29]
	v_add_f64_e32 v[34:35], v[4:5], v[34:35]
	v_fma_f64 v[48:49], v[48:49], -0.5, v[52:53]
	v_add_f64_e32 v[38:39], v[58:59], v[38:39]
	v_fma_f64 v[2:3], v[50:51], -0.5, v[2:3]
	v_fma_f64 v[4:5], v[54:55], -0.5, v[4:5]
	v_add_f64_e64 v[50:51], v[92:93], -v[88:89]
	v_fma_f64 v[52:53], v[56:57], -0.5, v[58:59]
	v_add_f64_e32 v[6:7], v[60:61], v[6:7]
	v_add_f64_e32 v[18:19], v[77:78], v[18:19]
	;; [unrolled: 1-line block ×4, first 2 shown]
	v_fma_f64 v[56:57], v[73:74], s[4:5], v[40:41]
	s_wait_alu 0xfffe
	v_fma_f64 v[40:41], v[73:74], s[0:1], v[40:41]
	v_fma_f64 v[58:59], v[70:71], s[4:5], v[8:9]
	;; [unrolled: 1-line block ×7, first 2 shown]
	v_and_b32_e32 v44, 0xffff, v110
	v_lshlrev_b32_e32 v45, 3, v111
	v_add_nc_u32_e32 v70, 0, v81
	v_lshlrev_b32_e32 v71, 3, v109
	v_add_f64_e32 v[28:29], v[28:29], v[32:33]
	v_mad_u32_u24 v44, 0x9c0, v44, 0
	v_add_f64_e32 v[32:33], v[34:35], v[36:37]
	v_fma_f64 v[36:37], v[46:47], s[0:1], v[48:49]
	v_add_f64_e32 v[34:35], v[38:39], v[22:23]
	v_fma_f64 v[38:39], v[46:47], s[4:5], v[48:49]
	v_add3_u32 v75, 0, v45, v67
	v_add3_u32 v20, v44, v20, v67
	v_fma_f64 v[44:45], v[12:13], s[0:1], v[2:3]
	v_fma_f64 v[46:47], v[12:13], s[4:5], v[2:3]
	;; [unrolled: 1-line block ×3, first 2 shown]
	v_add3_u32 v76, v70, v71, v67
	v_fma_f64 v[70:71], v[14:15], s[4:5], v[4:5]
	v_fma_f64 v[73:74], v[50:51], s[0:1], v[52:53]
	;; [unrolled: 1-line block ×3, first 2 shown]
	v_add_nc_u32_e32 v67, 0x1000, v75
	ds_store_2addr_b64 v86, v[6:7], v[56:57] offset1:104
	ds_store_b64 v86, v[40:41] offset:1664
	ds_store_2addr_b64 v76, v[16:17], v[58:59] offset1:104
	ds_store_b64 v76, v[8:9] offset:1664
	;; [unrolled: 2-line block ×3, first 2 shown]
	ds_store_2addr_b64 v67, v[54:55], v[42:43] offset0:112 offset1:216
	ds_store_b64 v75, v[0:1] offset:6656
	global_wb scope:SCOPE_SE
	s_wait_dscnt 0x0
	s_barrier_signal -1
	s_barrier_wait -1
	global_inv scope:SCOPE_SE
	ds_load_2addr_b64 v[4:7], v96 offset0:106 offset1:184
	ds_load_2addr_b64 v[16:19], v94 offset0:34 offset1:112
	ds_load_2addr_b64 v[0:3], v86 offset0:78 offset1:156
	ds_load_2addr_b64 v[8:11], v72 offset0:134 offset1:212
	ds_load_2addr_b64 v[12:15], v95 offset0:62 offset1:140
	ds_load_b64 v[22:23], v87
	ds_load_b64 v[26:27], v86 offset:6864
	global_wb scope:SCOPE_SE
	s_wait_dscnt 0x0
	s_barrier_signal -1
	s_barrier_wait -1
	global_inv scope:SCOPE_SE
	ds_store_2addr_b64 v86, v[30:31], v[36:37] offset1:104
	ds_store_b64 v86, v[38:39] offset:1664
	ds_store_2addr_b64 v76, v[28:29], v[44:45] offset1:104
	ds_store_b64 v76, v[46:47] offset:1664
	;; [unrolled: 2-line block ×3, first 2 shown]
	ds_store_2addr_b64 v67, v[34:35], v[73:74] offset0:112 offset1:216
	ds_store_b64 v75, v[50:51] offset:6656
	global_wb scope:SCOPE_SE
	s_wait_dscnt 0x0
	s_barrier_signal -1
	s_barrier_wait -1
	global_inv scope:SCOPE_SE
	s_and_saveexec_b32 s10, vcc_lo
	s_cbranch_execz .LBB0_22
; %bb.21:
	v_dual_mov_b32 v70, v21 :: v_dual_mov_b32 v67, v21
	v_add_nc_u32_e32 v20, 0x400, v86
	v_add_nc_u32_e32 v60, 0x1400, v86
	;; [unrolled: 1-line block ×3, first 2 shown]
	s_delay_alu instid0(VALU_DEP_4) | instskip(SKIP_2) | instid1(VALU_DEP_2)
	v_lshlrev_b64_e32 v[28:29], 4, v[69:70]
	v_mov_b32_e32 v69, v21
	v_mul_lo_u32 v84, s2, v65
	v_lshlrev_b64_e32 v[44:45], 4, v[68:69]
	s_delay_alu instid0(VALU_DEP_4)
	v_add_co_u32 v40, vcc_lo, s8, v28
	s_wait_alu 0xfffd
	v_add_co_ci_u32_e32 v41, vcc_lo, s9, v29, vcc_lo
	s_clause 0x1
	global_load_b128 v[28:31], v[24:25], off offset:4976
	global_load_b128 v[32:35], v[24:25], off offset:4960
	v_lshlrev_b64_e32 v[24:25], 4, v[66:67]
	v_add_co_u32 v48, vcc_lo, s8, v44
	s_wait_alu 0xfffd
	v_add_co_ci_u32_e32 v49, vcc_lo, s9, v45, vcc_lo
	s_clause 0x1
	global_load_b128 v[36:39], v[40:41], off offset:4976
	global_load_b128 v[40:43], v[40:41], off offset:4960
	v_add_co_u32 v24, vcc_lo, s8, v24
	s_wait_alu 0xfffd
	v_add_co_ci_u32_e32 v25, vcc_lo, s9, v25, vcc_lo
	s_clause 0x3
	global_load_b128 v[44:47], v[48:49], off offset:4960
	global_load_b128 v[48:51], v[48:49], off offset:4976
	;; [unrolled: 1-line block ×4, first 2 shown]
	v_add_nc_u32_e32 v24, 0x1000, v86
	ds_load_2addr_b64 v[66:69], v20 offset0:106 offset1:184
	ds_load_2addr_b64 v[70:73], v24 offset0:34 offset1:112
	v_add_nc_u32_e32 v20, 0x800, v86
	ds_load_b64 v[24:25], v86 offset:6864
	ds_load_2addr_b64 v[74:77], v20 offset0:134 offset1:212
	ds_load_2addr_b64 v[78:81], v60 offset0:62 offset1:140
	ds_load_b64 v[82:83], v87
	v_mul_lo_u32 v20, s3, v64
	v_mad_co_u64_u32 v[64:65], null, s2, v64, 0
	s_delay_alu instid0(VALU_DEP_1)
	v_add3_u32 v65, v65, v84, v20
	s_wait_loadcnt 0x7
	v_mul_f64_e32 v[89:90], v[18:19], v[30:31]
	s_wait_loadcnt 0x6
	v_mul_f64_e32 v[87:88], v[6:7], v[34:35]
	s_wait_dscnt 0x5
	v_mul_f64_e32 v[34:35], v[68:69], v[34:35]
	s_wait_dscnt 0x4
	v_mul_f64_e32 v[30:31], v[72:73], v[30:31]
	s_wait_loadcnt 0x5
	v_mul_f64_e32 v[93:94], v[26:27], v[38:39]
	s_wait_loadcnt 0x4
	v_mul_f64_e32 v[91:92], v[16:17], v[42:43]
	v_mul_f64_e32 v[42:43], v[70:71], v[42:43]
	s_wait_dscnt 0x3
	v_mul_f64_e32 v[38:39], v[24:25], v[38:39]
	s_wait_loadcnt 0x3
	v_mul_f64_e32 v[95:96], v[10:11], v[46:47]
	s_wait_loadcnt 0x2
	;; [unrolled: 2-line block ×4, first 2 shown]
	v_mul_f64_e32 v[101:102], v[12:13], v[58:59]
	s_wait_dscnt 0x2
	v_mul_f64_e32 v[54:55], v[74:75], v[54:55]
	s_wait_dscnt 0x1
	v_mul_f64_e32 v[103:104], v[78:79], v[58:59]
	v_mul_f64_e32 v[46:47], v[76:77], v[46:47]
	;; [unrolled: 1-line block ×3, first 2 shown]
	ds_load_2addr_b64 v[58:61], v86 offset0:78 offset1:156
	v_lshrrev_b32_e32 v86, 3, v85
	v_fma_f64 v[72:73], v[72:73], v[28:29], -v[89:90]
	v_fma_f64 v[68:69], v[68:69], v[32:33], -v[87:88]
	v_fma_f64 v[6:7], v[6:7], v[32:33], v[34:35]
	v_fma_f64 v[18:19], v[18:19], v[28:29], v[30:31]
	v_fma_f64 v[24:25], v[24:25], v[36:37], -v[93:94]
	v_fma_f64 v[28:29], v[70:71], v[40:41], -v[91:92]
	v_fma_f64 v[16:17], v[16:17], v[40:41], v[42:43]
	v_fma_f64 v[26:27], v[26:27], v[36:37], v[38:39]
	v_fma_f64 v[30:31], v[76:77], v[44:45], -v[95:96]
	v_fma_f64 v[32:33], v[80:81], v[48:49], -v[97:98]
	;; [unrolled: 1-line block ×4, first 2 shown]
	v_fma_f64 v[8:9], v[8:9], v[52:53], v[54:55]
	v_fma_f64 v[12:13], v[12:13], v[56:57], v[103:104]
	;; [unrolled: 1-line block ×4, first 2 shown]
	v_dual_mov_b32 v51, v21 :: v_dual_add_nc_u32 v50, 0x9c, v85
	v_lshrrev_b32_e32 v40, 3, v105
	v_add_nc_u32_e32 v70, 0xea, v85
	v_mul_hi_u32 v41, 0x1a41a41b, v86
	v_lshlrev_b64_e32 v[38:39], 4, v[62:63]
	v_lshrrev_b32_e32 v42, 3, v50
	v_mul_hi_u32 v44, 0x1a41a41b, v40
	v_lshrrev_b32_e32 v43, 3, v70
	v_mov_b32_e32 v40, v21
	s_delay_alu instid0(VALU_DEP_4) | instskip(SKIP_1) | instid1(VALU_DEP_4)
	v_mul_hi_u32 v20, 0x1a41a41b, v42
	v_lshrrev_b32_e32 v46, 2, v41
	v_mul_hi_u32 v45, 0x1a41a41b, v43
	v_lshlrev_b64_e32 v[42:43], 4, v[64:65]
	v_lshrrev_b32_e32 v44, 2, v44
	v_mov_b32_e32 v41, v21
	v_mul_u32_u24_e32 v46, 0x138, v46
	v_lshrrev_b32_e32 v76, 2, v20
	s_delay_alu instid0(VALU_DEP_4)
	v_mul_u32_u24_e32 v20, 0x138, v44
	v_add_co_u32 v64, vcc_lo, s6, v42
	v_lshrrev_b32_e32 v96, 2, v45
	s_wait_alu 0xfffd
	v_add_co_ci_u32_e32 v65, vcc_lo, s7, v43, vcc_lo
	v_sub_nc_u32_e32 v20, v105, v20
	v_add_f64_e32 v[42:43], v[68:69], v[72:73]
	v_sub_nc_u32_e32 v71, v85, v46
	v_add_f64_e32 v[46:47], v[28:29], v[24:25]
	v_add_f64_e32 v[48:49], v[16:17], v[26:27]
	v_mad_u32_u24 v20, 0x3a8, v44, v20
	v_add_f64_e32 v[44:45], v[6:7], v[18:19]
	v_add_f64_e32 v[52:53], v[30:31], v[32:33]
	;; [unrolled: 1-line block ×4, first 2 shown]
	v_mul_u32_u24_e32 v74, 0x138, v76
	v_add_f64_e32 v[54:55], v[10:11], v[14:15]
	v_add_co_u32 v97, vcc_lo, v64, v38
	v_mul_u32_u24_e32 v75, 0x138, v96
	s_wait_alu 0xfffd
	v_add_co_ci_u32_e32 v98, vcc_lo, v65, v39, vcc_lo
	v_sub_nc_u32_e32 v50, v50, v74
	v_lshlrev_b64_e32 v[64:65], 4, v[20:21]
	v_add_nc_u32_e32 v39, 0x138, v20
	v_add_nc_u32_e32 v20, 0x270, v20
	v_sub_nc_u32_e32 v99, v70, v75
	s_wait_dscnt 0x1
	v_add_f64_e32 v[78:79], v[82:83], v[68:69]
	v_add_f64_e64 v[68:69], v[68:69], -v[72:73]
	v_add_f64_e64 v[80:81], v[16:17], -v[26:27]
	v_lshlrev_b64_e32 v[74:75], 4, v[20:21]
	v_mad_u32_u24 v20, 0x3a8, v76, v50
	v_add_f64_e64 v[76:77], v[6:7], -v[18:19]
	v_add_f64_e32 v[6:7], v[22:23], v[6:7]
	v_add_f64_e32 v[84:85], v[66:67], v[28:29]
	;; [unrolled: 1-line block ×4, first 2 shown]
	s_wait_dscnt 0x0
	v_add_f64_e32 v[90:91], v[58:59], v[34:35]
	v_add_f64_e32 v[92:93], v[0:1], v[8:9]
	v_add_f64_e64 v[86:87], v[28:29], -v[24:25]
	v_add_f64_e32 v[28:29], v[60:61], v[30:31]
	v_add_f64_e64 v[94:95], v[30:31], -v[32:33]
	v_add_f64_e64 v[34:35], v[34:35], -v[36:37]
	v_lshlrev_b32_e32 v38, 4, v71
	v_fma_f64 v[42:43], v[42:43], -0.5, v[82:83]
	v_add_f64_e64 v[82:83], v[10:11], -v[14:15]
	v_fma_f64 v[30:31], v[46:47], -0.5, v[66:67]
	v_fma_f64 v[46:47], v[48:49], -0.5, v[4:5]
	v_add_co_u32 v70, vcc_lo, v97, v38
	v_fma_f64 v[22:23], v[44:45], -0.5, v[22:23]
	v_add_f64_e64 v[44:45], v[8:9], -v[12:13]
	v_fma_f64 v[48:49], v[52:53], -0.5, v[60:61]
	v_fma_f64 v[52:53], v[56:57], -0.5, v[58:59]
	;; [unrolled: 1-line block ×4, first 2 shown]
	v_lshlrev_b64_e32 v[38:39], 4, v[39:40]
	s_wait_alu 0xfffd
	v_add_co_ci_u32_e32 v71, vcc_lo, 0, v98, vcc_lo
	v_add_nc_u32_e32 v40, 0x138, v20
	v_add_co_u32 v58, vcc_lo, v97, v64
	s_wait_alu 0xfffd
	v_add_co_ci_u32_e32 v59, vcc_lo, v98, v65, vcc_lo
	v_add_co_u32 v62, vcc_lo, v97, v38
	v_add_f64_e32 v[2:3], v[78:79], v[72:73]
	v_lshlrev_b64_e32 v[66:67], 4, v[40:41]
	s_wait_alu 0xfffd
	v_add_co_ci_u32_e32 v63, vcc_lo, v98, v39, vcc_lo
	v_lshlrev_b64_e32 v[60:61], 4, v[20:21]
	v_add_f64_e32 v[0:1], v[6:7], v[18:19]
	v_add_f64_e32 v[6:7], v[84:85], v[24:25]
	;; [unrolled: 1-line block ×6, first 2 shown]
	v_add_nc_u32_e32 v20, 0x270, v20
	v_add_f64_e32 v[10:11], v[28:29], v[32:33]
	v_add_co_u32 v64, vcc_lo, v97, v74
	s_wait_alu 0xfffd
	v_add_co_ci_u32_e32 v65, vcc_lo, v98, v75, vcc_lo
	v_fma_f64 v[24:25], v[76:77], s[0:1], v[42:43]
	v_fma_f64 v[18:19], v[76:77], s[4:5], v[42:43]
	;; [unrolled: 1-line block ×16, first 2 shown]
	v_lshlrev_b64_e32 v[74:75], 4, v[20:21]
	v_mad_u32_u24 v20, 0x3a8, v96, v99
	v_add_co_u32 v52, vcc_lo, v97, v60
	s_wait_alu 0xfffd
	v_add_co_ci_u32_e32 v53, vcc_lo, v98, v61, vcc_lo
	s_delay_alu instid0(VALU_DEP_3)
	v_add_nc_u32_e32 v50, 0x138, v20
	v_lshlrev_b64_e32 v[54:55], 4, v[20:21]
	v_add_co_u32 v56, vcc_lo, v97, v66
	v_add_nc_u32_e32 v20, 0x270, v20
	s_wait_alu 0xfffd
	v_add_co_ci_u32_e32 v57, vcc_lo, v98, v67, vcc_lo
	v_add_co_u32 v60, vcc_lo, v97, v74
	v_lshlrev_b64_e32 v[50:51], 4, v[50:51]
	s_wait_alu 0xfffd
	v_add_co_ci_u32_e32 v61, vcc_lo, v98, v75, vcc_lo
	v_lshlrev_b64_e32 v[20:21], 4, v[20:21]
	v_add_co_u32 v54, vcc_lo, v97, v54
	s_wait_alu 0xfffd
	v_add_co_ci_u32_e32 v55, vcc_lo, v98, v55, vcc_lo
	v_add_co_u32 v50, vcc_lo, v97, v50
	s_wait_alu 0xfffd
	v_add_co_ci_u32_e32 v51, vcc_lo, v98, v51, vcc_lo
	;; [unrolled: 3-line block ×3, first 2 shown]
	s_clause 0xb
	global_store_b128 v[70:71], v[0:3], off
	global_store_b128 v[70:71], v[22:25], off offset:4992
	global_store_b128 v[70:71], v[16:19], off offset:9984
	global_store_b128 v[58:59], v[12:15], off
	global_store_b128 v[62:63], v[42:45], off
	;; [unrolled: 1-line block ×9, first 2 shown]
.LBB0_22:
	s_nop 0
	s_sendmsg sendmsg(MSG_DEALLOC_VGPRS)
	s_endpgm
	.section	.rodata,"a",@progbits
	.p2align	6, 0x0
	.amdhsa_kernel fft_rtc_back_len936_factors_2_2_13_2_3_3_wgs_234_tpt_78_halfLds_dp_op_CI_CI_unitstride_sbrr_dirReg
		.amdhsa_group_segment_fixed_size 0
		.amdhsa_private_segment_fixed_size 0
		.amdhsa_kernarg_size 104
		.amdhsa_user_sgpr_count 2
		.amdhsa_user_sgpr_dispatch_ptr 0
		.amdhsa_user_sgpr_queue_ptr 0
		.amdhsa_user_sgpr_kernarg_segment_ptr 1
		.amdhsa_user_sgpr_dispatch_id 0
		.amdhsa_user_sgpr_private_segment_size 0
		.amdhsa_wavefront_size32 1
		.amdhsa_uses_dynamic_stack 0
		.amdhsa_enable_private_segment 0
		.amdhsa_system_sgpr_workgroup_id_x 1
		.amdhsa_system_sgpr_workgroup_id_y 0
		.amdhsa_system_sgpr_workgroup_id_z 0
		.amdhsa_system_sgpr_workgroup_info 0
		.amdhsa_system_vgpr_workitem_id 0
		.amdhsa_next_free_vgpr 168
		.amdhsa_next_free_sgpr 44
		.amdhsa_reserve_vcc 1
		.amdhsa_float_round_mode_32 0
		.amdhsa_float_round_mode_16_64 0
		.amdhsa_float_denorm_mode_32 3
		.amdhsa_float_denorm_mode_16_64 3
		.amdhsa_fp16_overflow 0
		.amdhsa_workgroup_processor_mode 1
		.amdhsa_memory_ordered 1
		.amdhsa_forward_progress 0
		.amdhsa_round_robin_scheduling 0
		.amdhsa_exception_fp_ieee_invalid_op 0
		.amdhsa_exception_fp_denorm_src 0
		.amdhsa_exception_fp_ieee_div_zero 0
		.amdhsa_exception_fp_ieee_overflow 0
		.amdhsa_exception_fp_ieee_underflow 0
		.amdhsa_exception_fp_ieee_inexact 0
		.amdhsa_exception_int_div_zero 0
	.end_amdhsa_kernel
	.text
.Lfunc_end0:
	.size	fft_rtc_back_len936_factors_2_2_13_2_3_3_wgs_234_tpt_78_halfLds_dp_op_CI_CI_unitstride_sbrr_dirReg, .Lfunc_end0-fft_rtc_back_len936_factors_2_2_13_2_3_3_wgs_234_tpt_78_halfLds_dp_op_CI_CI_unitstride_sbrr_dirReg
                                        ; -- End function
	.section	.AMDGPU.csdata,"",@progbits
; Kernel info:
; codeLenInByte = 11284
; NumSgprs: 46
; NumVgprs: 168
; ScratchSize: 0
; MemoryBound: 1
; FloatMode: 240
; IeeeMode: 1
; LDSByteSize: 0 bytes/workgroup (compile time only)
; SGPRBlocks: 5
; VGPRBlocks: 20
; NumSGPRsForWavesPerEU: 46
; NumVGPRsForWavesPerEU: 168
; Occupancy: 9
; WaveLimiterHint : 1
; COMPUTE_PGM_RSRC2:SCRATCH_EN: 0
; COMPUTE_PGM_RSRC2:USER_SGPR: 2
; COMPUTE_PGM_RSRC2:TRAP_HANDLER: 0
; COMPUTE_PGM_RSRC2:TGID_X_EN: 1
; COMPUTE_PGM_RSRC2:TGID_Y_EN: 0
; COMPUTE_PGM_RSRC2:TGID_Z_EN: 0
; COMPUTE_PGM_RSRC2:TIDIG_COMP_CNT: 0
	.text
	.p2alignl 7, 3214868480
	.fill 96, 4, 3214868480
	.type	__hip_cuid_4e24ff612682baa6,@object ; @__hip_cuid_4e24ff612682baa6
	.section	.bss,"aw",@nobits
	.globl	__hip_cuid_4e24ff612682baa6
__hip_cuid_4e24ff612682baa6:
	.byte	0                               ; 0x0
	.size	__hip_cuid_4e24ff612682baa6, 1

	.ident	"AMD clang version 19.0.0git (https://github.com/RadeonOpenCompute/llvm-project roc-6.4.0 25133 c7fe45cf4b819c5991fe208aaa96edf142730f1d)"
	.section	".note.GNU-stack","",@progbits
	.addrsig
	.addrsig_sym __hip_cuid_4e24ff612682baa6
	.amdgpu_metadata
---
amdhsa.kernels:
  - .args:
      - .actual_access:  read_only
        .address_space:  global
        .offset:         0
        .size:           8
        .value_kind:     global_buffer
      - .offset:         8
        .size:           8
        .value_kind:     by_value
      - .actual_access:  read_only
        .address_space:  global
        .offset:         16
        .size:           8
        .value_kind:     global_buffer
      - .actual_access:  read_only
        .address_space:  global
        .offset:         24
        .size:           8
        .value_kind:     global_buffer
      - .actual_access:  read_only
        .address_space:  global
        .offset:         32
        .size:           8
        .value_kind:     global_buffer
      - .offset:         40
        .size:           8
        .value_kind:     by_value
      - .actual_access:  read_only
        .address_space:  global
        .offset:         48
        .size:           8
        .value_kind:     global_buffer
      - .actual_access:  read_only
        .address_space:  global
        .offset:         56
        .size:           8
        .value_kind:     global_buffer
      - .offset:         64
        .size:           4
        .value_kind:     by_value
      - .actual_access:  read_only
        .address_space:  global
        .offset:         72
        .size:           8
        .value_kind:     global_buffer
      - .actual_access:  read_only
        .address_space:  global
        .offset:         80
        .size:           8
        .value_kind:     global_buffer
      - .actual_access:  read_only
        .address_space:  global
        .offset:         88
        .size:           8
        .value_kind:     global_buffer
      - .actual_access:  write_only
        .address_space:  global
        .offset:         96
        .size:           8
        .value_kind:     global_buffer
    .group_segment_fixed_size: 0
    .kernarg_segment_align: 8
    .kernarg_segment_size: 104
    .language:       OpenCL C
    .language_version:
      - 2
      - 0
    .max_flat_workgroup_size: 234
    .name:           fft_rtc_back_len936_factors_2_2_13_2_3_3_wgs_234_tpt_78_halfLds_dp_op_CI_CI_unitstride_sbrr_dirReg
    .private_segment_fixed_size: 0
    .sgpr_count:     46
    .sgpr_spill_count: 0
    .symbol:         fft_rtc_back_len936_factors_2_2_13_2_3_3_wgs_234_tpt_78_halfLds_dp_op_CI_CI_unitstride_sbrr_dirReg.kd
    .uniform_work_group_size: 1
    .uses_dynamic_stack: false
    .vgpr_count:     168
    .vgpr_spill_count: 0
    .wavefront_size: 32
    .workgroup_processor_mode: 1
amdhsa.target:   amdgcn-amd-amdhsa--gfx1201
amdhsa.version:
  - 1
  - 2
...

	.end_amdgpu_metadata
